;; amdgpu-corpus repo=ROCm/rocFFT kind=compiled arch=gfx1030 opt=O3
	.text
	.amdgcn_target "amdgcn-amd-amdhsa--gfx1030"
	.amdhsa_code_object_version 6
	.protected	fft_rtc_fwd_len2002_factors_2_13_7_11_wgs_182_tpt_182_halfLds_half_op_CI_CI_unitstride_sbrr_C2R_dirReg ; -- Begin function fft_rtc_fwd_len2002_factors_2_13_7_11_wgs_182_tpt_182_halfLds_half_op_CI_CI_unitstride_sbrr_C2R_dirReg
	.globl	fft_rtc_fwd_len2002_factors_2_13_7_11_wgs_182_tpt_182_halfLds_half_op_CI_CI_unitstride_sbrr_C2R_dirReg
	.p2align	8
	.type	fft_rtc_fwd_len2002_factors_2_13_7_11_wgs_182_tpt_182_halfLds_half_op_CI_CI_unitstride_sbrr_C2R_dirReg,@function
fft_rtc_fwd_len2002_factors_2_13_7_11_wgs_182_tpt_182_halfLds_half_op_CI_CI_unitstride_sbrr_C2R_dirReg: ; @fft_rtc_fwd_len2002_factors_2_13_7_11_wgs_182_tpt_182_halfLds_half_op_CI_CI_unitstride_sbrr_C2R_dirReg
; %bb.0:
	s_clause 0x2
	s_load_dwordx4 s[12:15], s[4:5], 0x0
	s_load_dwordx4 s[8:11], s[4:5], 0x58
	;; [unrolled: 1-line block ×3, first 2 shown]
	v_mul_u32_u24_e32 v1, 0x169, v0
	v_mov_b32_e32 v8, 0
	v_mov_b32_e32 v6, 0
	;; [unrolled: 1-line block ×3, first 2 shown]
	v_add_nc_u32_sdwa v10, s6, v1 dst_sel:DWORD dst_unused:UNUSED_PAD src0_sel:DWORD src1_sel:WORD_1
	v_mov_b32_e32 v11, v8
	s_waitcnt lgkmcnt(0)
	v_cmp_lt_u64_e64 s0, s[14:15], 2
	s_and_b32 vcc_lo, exec_lo, s0
	s_cbranch_vccnz .LBB0_8
; %bb.1:
	s_load_dwordx2 s[0:1], s[4:5], 0x10
	v_mov_b32_e32 v6, 0
	v_mov_b32_e32 v7, 0
	s_add_u32 s2, s18, 8
	s_addc_u32 s3, s19, 0
	v_mov_b32_e32 v1, v6
	s_add_u32 s6, s16, 8
	v_mov_b32_e32 v2, v7
	s_addc_u32 s7, s17, 0
	s_mov_b64 s[22:23], 1
	s_waitcnt lgkmcnt(0)
	s_add_u32 s20, s0, 8
	s_addc_u32 s21, s1, 0
.LBB0_2:                                ; =>This Inner Loop Header: Depth=1
	s_load_dwordx2 s[24:25], s[20:21], 0x0
                                        ; implicit-def: $vgpr3_vgpr4
	s_mov_b32 s0, exec_lo
	s_waitcnt lgkmcnt(0)
	v_or_b32_e32 v9, s25, v11
	v_cmpx_ne_u64_e32 0, v[8:9]
	s_xor_b32 s1, exec_lo, s0
	s_cbranch_execz .LBB0_4
; %bb.3:                                ;   in Loop: Header=BB0_2 Depth=1
	v_cvt_f32_u32_e32 v3, s24
	v_cvt_f32_u32_e32 v4, s25
	s_sub_u32 s0, 0, s24
	s_subb_u32 s26, 0, s25
	v_fmac_f32_e32 v3, 0x4f800000, v4
	v_rcp_f32_e32 v3, v3
	v_mul_f32_e32 v3, 0x5f7ffffc, v3
	v_mul_f32_e32 v4, 0x2f800000, v3
	v_trunc_f32_e32 v4, v4
	v_fmac_f32_e32 v3, 0xcf800000, v4
	v_cvt_u32_f32_e32 v4, v4
	v_cvt_u32_f32_e32 v3, v3
	v_mul_lo_u32 v5, s0, v4
	v_mul_hi_u32 v9, s0, v3
	v_mul_lo_u32 v12, s26, v3
	v_add_nc_u32_e32 v5, v9, v5
	v_mul_lo_u32 v9, s0, v3
	v_add_nc_u32_e32 v5, v5, v12
	v_mul_hi_u32 v12, v3, v9
	v_mul_lo_u32 v13, v3, v5
	v_mul_hi_u32 v14, v3, v5
	v_mul_hi_u32 v15, v4, v9
	v_mul_lo_u32 v9, v4, v9
	v_mul_hi_u32 v16, v4, v5
	v_mul_lo_u32 v5, v4, v5
	v_add_co_u32 v12, vcc_lo, v12, v13
	v_add_co_ci_u32_e32 v13, vcc_lo, 0, v14, vcc_lo
	v_add_co_u32 v9, vcc_lo, v12, v9
	v_add_co_ci_u32_e32 v9, vcc_lo, v13, v15, vcc_lo
	v_add_co_ci_u32_e32 v12, vcc_lo, 0, v16, vcc_lo
	v_add_co_u32 v5, vcc_lo, v9, v5
	v_add_co_ci_u32_e32 v9, vcc_lo, 0, v12, vcc_lo
	v_add_co_u32 v3, vcc_lo, v3, v5
	v_add_co_ci_u32_e32 v4, vcc_lo, v4, v9, vcc_lo
	v_mul_hi_u32 v5, s0, v3
	v_mul_lo_u32 v12, s26, v3
	v_mul_lo_u32 v9, s0, v4
	v_add_nc_u32_e32 v5, v5, v9
	v_mul_lo_u32 v9, s0, v3
	v_add_nc_u32_e32 v5, v5, v12
	v_mul_hi_u32 v12, v3, v9
	v_mul_lo_u32 v13, v3, v5
	v_mul_hi_u32 v14, v3, v5
	v_mul_hi_u32 v15, v4, v9
	v_mul_lo_u32 v9, v4, v9
	v_mul_hi_u32 v16, v4, v5
	v_mul_lo_u32 v5, v4, v5
	v_add_co_u32 v12, vcc_lo, v12, v13
	v_add_co_ci_u32_e32 v13, vcc_lo, 0, v14, vcc_lo
	v_add_co_u32 v9, vcc_lo, v12, v9
	v_add_co_ci_u32_e32 v9, vcc_lo, v13, v15, vcc_lo
	v_add_co_ci_u32_e32 v12, vcc_lo, 0, v16, vcc_lo
	v_add_co_u32 v5, vcc_lo, v9, v5
	v_add_co_ci_u32_e32 v9, vcc_lo, 0, v12, vcc_lo
	v_add_co_u32 v5, vcc_lo, v3, v5
	v_add_co_ci_u32_e32 v9, vcc_lo, v4, v9, vcc_lo
	v_mul_hi_u32 v16, v10, v5
	v_mad_u64_u32 v[12:13], null, v11, v5, 0
	v_mad_u64_u32 v[3:4], null, v10, v9, 0
	;; [unrolled: 1-line block ×3, first 2 shown]
	v_add_co_u32 v3, vcc_lo, v16, v3
	v_add_co_ci_u32_e32 v4, vcc_lo, 0, v4, vcc_lo
	v_add_co_u32 v3, vcc_lo, v3, v12
	v_add_co_ci_u32_e32 v3, vcc_lo, v4, v13, vcc_lo
	v_add_co_ci_u32_e32 v4, vcc_lo, 0, v15, vcc_lo
	v_add_co_u32 v5, vcc_lo, v3, v14
	v_add_co_ci_u32_e32 v9, vcc_lo, 0, v4, vcc_lo
	v_mul_lo_u32 v12, s25, v5
	v_mad_u64_u32 v[3:4], null, s24, v5, 0
	v_mul_lo_u32 v13, s24, v9
	v_sub_co_u32 v3, vcc_lo, v10, v3
	v_add3_u32 v4, v4, v13, v12
	v_sub_nc_u32_e32 v12, v11, v4
	v_subrev_co_ci_u32_e64 v12, s0, s25, v12, vcc_lo
	v_add_co_u32 v13, s0, v5, 2
	v_add_co_ci_u32_e64 v14, s0, 0, v9, s0
	v_sub_co_u32 v15, s0, v3, s24
	v_sub_co_ci_u32_e32 v4, vcc_lo, v11, v4, vcc_lo
	v_subrev_co_ci_u32_e64 v12, s0, 0, v12, s0
	v_cmp_le_u32_e32 vcc_lo, s24, v15
	v_cmp_eq_u32_e64 s0, s25, v4
	v_cndmask_b32_e64 v15, 0, -1, vcc_lo
	v_cmp_le_u32_e32 vcc_lo, s25, v12
	v_cndmask_b32_e64 v16, 0, -1, vcc_lo
	v_cmp_le_u32_e32 vcc_lo, s24, v3
	;; [unrolled: 2-line block ×3, first 2 shown]
	v_cndmask_b32_e64 v17, 0, -1, vcc_lo
	v_cmp_eq_u32_e32 vcc_lo, s25, v12
	v_cndmask_b32_e64 v3, v17, v3, s0
	v_cndmask_b32_e32 v12, v16, v15, vcc_lo
	v_add_co_u32 v15, vcc_lo, v5, 1
	v_add_co_ci_u32_e32 v16, vcc_lo, 0, v9, vcc_lo
	v_cmp_ne_u32_e32 vcc_lo, 0, v12
	v_cndmask_b32_e32 v4, v16, v14, vcc_lo
	v_cndmask_b32_e32 v12, v15, v13, vcc_lo
	v_cmp_ne_u32_e32 vcc_lo, 0, v3
	v_cndmask_b32_e32 v4, v9, v4, vcc_lo
	v_cndmask_b32_e32 v3, v5, v12, vcc_lo
.LBB0_4:                                ;   in Loop: Header=BB0_2 Depth=1
	s_andn2_saveexec_b32 s0, s1
	s_cbranch_execz .LBB0_6
; %bb.5:                                ;   in Loop: Header=BB0_2 Depth=1
	v_cvt_f32_u32_e32 v3, s24
	s_sub_i32 s1, 0, s24
	v_rcp_iflag_f32_e32 v3, v3
	v_mul_f32_e32 v3, 0x4f7ffffe, v3
	v_cvt_u32_f32_e32 v3, v3
	v_mul_lo_u32 v4, s1, v3
	v_mul_hi_u32 v4, v3, v4
	v_add_nc_u32_e32 v3, v3, v4
	v_mul_hi_u32 v3, v10, v3
	v_mul_lo_u32 v4, v3, s24
	v_add_nc_u32_e32 v5, 1, v3
	v_sub_nc_u32_e32 v4, v10, v4
	v_subrev_nc_u32_e32 v9, s24, v4
	v_cmp_le_u32_e32 vcc_lo, s24, v4
	v_cndmask_b32_e32 v4, v4, v9, vcc_lo
	v_cndmask_b32_e32 v3, v3, v5, vcc_lo
	v_cmp_le_u32_e32 vcc_lo, s24, v4
	v_add_nc_u32_e32 v5, 1, v3
	v_mov_b32_e32 v4, v8
	v_cndmask_b32_e32 v3, v3, v5, vcc_lo
.LBB0_6:                                ;   in Loop: Header=BB0_2 Depth=1
	s_or_b32 exec_lo, exec_lo, s0
	v_mul_lo_u32 v5, v4, s24
	v_mul_lo_u32 v9, v3, s25
	s_load_dwordx2 s[0:1], s[6:7], 0x0
	v_mad_u64_u32 v[12:13], null, v3, s24, 0
	s_load_dwordx2 s[24:25], s[2:3], 0x0
	s_add_u32 s22, s22, 1
	s_addc_u32 s23, s23, 0
	s_add_u32 s2, s2, 8
	s_addc_u32 s3, s3, 0
	s_add_u32 s6, s6, 8
	v_add3_u32 v5, v13, v9, v5
	v_sub_co_u32 v9, vcc_lo, v10, v12
	s_addc_u32 s7, s7, 0
	s_add_u32 s20, s20, 8
	v_sub_co_ci_u32_e32 v5, vcc_lo, v11, v5, vcc_lo
	s_addc_u32 s21, s21, 0
	s_waitcnt lgkmcnt(0)
	v_mul_lo_u32 v10, s0, v5
	v_mul_lo_u32 v11, s1, v9
	v_mad_u64_u32 v[6:7], null, s0, v9, v[6:7]
	v_mul_lo_u32 v5, s24, v5
	v_mul_lo_u32 v12, s25, v9
	v_mad_u64_u32 v[1:2], null, s24, v9, v[1:2]
	v_cmp_ge_u64_e64 s0, s[22:23], s[14:15]
	v_add3_u32 v7, v11, v7, v10
	v_add3_u32 v2, v12, v2, v5
	s_and_b32 vcc_lo, exec_lo, s0
	s_cbranch_vccnz .LBB0_9
; %bb.7:                                ;   in Loop: Header=BB0_2 Depth=1
	v_mov_b32_e32 v11, v4
	v_mov_b32_e32 v10, v3
	s_branch .LBB0_2
.LBB0_8:
	v_mov_b32_e32 v1, v6
	v_mov_b32_e32 v3, v10
	;; [unrolled: 1-line block ×4, first 2 shown]
.LBB0_9:
	s_load_dwordx2 s[0:1], s[4:5], 0x28
	v_mul_hi_u32 v8, 0x1681682, v0
	s_lshl_b64 s[4:5], s[14:15], 3
                                        ; implicit-def: $vgpr5
	s_add_u32 s2, s18, s4
	s_addc_u32 s3, s19, s5
	s_waitcnt lgkmcnt(0)
	v_cmp_gt_u64_e32 vcc_lo, s[0:1], v[3:4]
	v_cmp_le_u64_e64 s0, s[0:1], v[3:4]
	s_and_saveexec_b32 s1, s0
	s_xor_b32 s0, exec_lo, s1
; %bb.10:
	v_mul_u32_u24_e32 v5, 0xb6, v8
                                        ; implicit-def: $vgpr8
                                        ; implicit-def: $vgpr6_vgpr7
	v_sub_nc_u32_e32 v5, v0, v5
                                        ; implicit-def: $vgpr0
; %bb.11:
	s_or_saveexec_b32 s1, s0
	s_load_dwordx2 s[2:3], s[2:3], 0x0
	s_xor_b32 exec_lo, exec_lo, s1
	s_cbranch_execz .LBB0_15
; %bb.12:
	s_add_u32 s4, s16, s4
	s_addc_u32 s5, s17, s5
	v_lshlrev_b64 v[6:7], 2, v[6:7]
	s_load_dwordx2 s[4:5], s[4:5], 0x0
	s_waitcnt lgkmcnt(0)
	v_mul_lo_u32 v5, s5, v3
	v_mul_lo_u32 v11, s4, v4
	v_mad_u64_u32 v[9:10], null, s4, v3, 0
	s_mov_b32 s4, exec_lo
	v_add3_u32 v10, v10, v11, v5
	v_mul_u32_u24_e32 v5, 0xb6, v8
	v_lshlrev_b64 v[8:9], 2, v[9:10]
	v_sub_nc_u32_e32 v5, v0, v5
	v_lshlrev_b32_e32 v15, 2, v5
	v_add_co_u32 v0, s0, s8, v8
	v_add_co_ci_u32_e64 v8, s0, s9, v9, s0
	v_add_co_u32 v0, s0, v0, v6
	v_add_co_ci_u32_e64 v6, s0, v8, v7, s0
	;; [unrolled: 2-line block ×6, first 2 shown]
	s_clause 0xa
	global_load_dword v16, v[7:8], off
	global_load_dword v17, v[7:8], off offset:728
	global_load_dword v7, v[7:8], off offset:1456
	;; [unrolled: 1-line block ×10, first 2 shown]
	v_add_nc_u32_e32 v14, 0, v15
	v_add_nc_u32_e32 v15, 0x500, v14
	;; [unrolled: 1-line block ×5, first 2 shown]
	s_waitcnt vmcnt(9)
	ds_write2_b32 v14, v16, v17 offset1:182
	s_waitcnt vmcnt(7)
	ds_write2_b32 v15, v7, v8 offset0:44 offset1:226
	s_waitcnt vmcnt(5)
	ds_write2_b32 v20, v18, v9 offset0:24 offset1:206
	;; [unrolled: 2-line block ×4, first 2 shown]
	s_waitcnt vmcnt(0)
	ds_write_b32 v14, v13 offset:7280
	v_cmpx_eq_u32_e32 0xb5, v5
	s_cbranch_execz .LBB0_14
; %bb.13:
	v_add_co_u32 v5, s0, 0x1800, v0
	v_add_co_ci_u32_e64 v6, s0, 0, v6, s0
	global_load_dword v0, v[5:6], off offset:1864
	v_mov_b32_e32 v6, 0
	v_mov_b32_e32 v5, 0xb5
	s_waitcnt vmcnt(0)
	ds_write_b32 v6, v0 offset:8008
.LBB0_14:
	s_or_b32 exec_lo, exec_lo, s4
.LBB0_15:
	s_or_b32 exec_lo, exec_lo, s1
	v_lshlrev_b32_e32 v6, 2, v5
	s_waitcnt lgkmcnt(0)
	s_barrier
	buffer_gl0_inv
	s_add_u32 s1, s12, 0x1f40
	v_add_nc_u32_e32 v0, 0, v6
	v_sub_nc_u32_e32 v8, 0, v6
	s_addc_u32 s4, s13, 0
	s_mov_b32 s5, exec_lo
                                        ; implicit-def: $vgpr6_vgpr7
	ds_read_u16 v11, v0
	ds_read_u16 v12, v8 offset:8008
	s_waitcnt lgkmcnt(0)
	v_add_f16_e32 v10, v12, v11
	v_sub_f16_e32 v9, v11, v12
	v_cmpx_ne_u32_e32 0, v5
	s_xor_b32 s5, exec_lo, s5
	s_cbranch_execz .LBB0_17
; %bb.16:
	v_mov_b32_e32 v6, 0
	v_add_f16_e32 v13, v12, v11
	v_sub_f16_e32 v11, v11, v12
	v_lshlrev_b64 v[9:10], 2, v[5:6]
	v_add_co_u32 v9, s0, s1, v9
	v_add_co_ci_u32_e64 v10, s0, s4, v10, s0
	global_load_dword v7, v[9:10], off
	ds_read_u16 v9, v8 offset:8010
	ds_read_u16 v10, v0 offset:2
	s_waitcnt lgkmcnt(0)
	v_add_f16_e32 v12, v9, v10
	v_sub_f16_e32 v9, v10, v9
	s_waitcnt vmcnt(0)
	v_lshrrev_b32_e32 v14, 16, v7
	v_fma_f16 v15, -v11, v14, v13
	v_fma_f16 v16, v12, v14, -v9
	v_fma_f16 v9, v12, v14, v9
	v_fma_f16 v10, v11, v14, v13
	v_fmac_f16_e32 v15, v7, v12
	v_fmac_f16_e32 v16, v11, v7
	;; [unrolled: 1-line block ×3, first 2 shown]
	v_fma_f16 v10, -v7, v12, v10
	v_mov_b32_e32 v7, v6
	v_mov_b32_e32 v6, v5
	v_pack_b32_f16 v11, v15, v16
	ds_write_b32 v8, v11 offset:8008
.LBB0_17:
	s_andn2_saveexec_b32 s0, s5
	s_cbranch_execz .LBB0_19
; %bb.18:
	v_mov_b32_e32 v11, 0
	ds_read_b32 v6, v11 offset:4004
	s_waitcnt lgkmcnt(0)
	v_pk_mul_f16 v12, 0xc0004000, v6
	v_mov_b32_e32 v6, 0
	v_mov_b32_e32 v7, 0
	ds_write_b32 v11, v12 offset:4004
.LBB0_19:
	s_or_b32 exec_lo, exec_lo, s0
	v_lshlrev_b64 v[6:7], 2, v[6:7]
	v_perm_b32 v9, v9, v10, 0x5040100
	v_add_co_u32 v6, s0, s1, v6
	v_add_co_ci_u32_e64 v7, s0, s4, v7, s0
	s_clause 0x1
	global_load_dword v11, v[6:7], off offset:728
	global_load_dword v12, v[6:7], off offset:1456
	v_add_co_u32 v6, s0, 0x800, v6
	v_add_co_ci_u32_e64 v7, s0, 0, v7, s0
	v_cmp_gt_u32_e64 s0, 0x5b, v5
	s_clause 0x1
	global_load_dword v13, v[6:7], off offset:136
	global_load_dword v14, v[6:7], off offset:864
	ds_write_b32 v0, v9
	ds_read_b32 v9, v0 offset:728
	ds_read_b32 v10, v8 offset:7280
	s_waitcnt lgkmcnt(0)
	v_add_f16_e32 v15, v9, v10
	v_add_f16_sdwa v16, v10, v9 dst_sel:DWORD dst_unused:UNUSED_PAD src0_sel:WORD_1 src1_sel:WORD_1
	v_sub_f16_e32 v17, v9, v10
	v_sub_f16_sdwa v9, v9, v10 dst_sel:DWORD dst_unused:UNUSED_PAD src0_sel:WORD_1 src1_sel:WORD_1
	s_waitcnt vmcnt(3)
	v_lshrrev_b32_e32 v18, 16, v11
	v_fma_f16 v10, v17, v18, v15
	v_fma_f16 v19, v16, v18, v9
	v_fma_f16 v15, -v17, v18, v15
	v_fma_f16 v9, v16, v18, -v9
	v_fma_f16 v10, -v11, v16, v10
	v_fmac_f16_e32 v19, v17, v11
	v_fmac_f16_e32 v15, v11, v16
	;; [unrolled: 1-line block ×3, first 2 shown]
	s_waitcnt vmcnt(2)
	v_lshrrev_b32_e32 v11, 16, v12
	v_pack_b32_f16 v10, v10, v19
	v_pack_b32_f16 v9, v15, v9
	ds_write_b32 v0, v10 offset:728
	ds_write_b32 v8, v9 offset:7280
	ds_read_b32 v9, v0 offset:1456
	ds_read_b32 v10, v8 offset:6552
	s_waitcnt lgkmcnt(0)
	v_add_f16_e32 v15, v9, v10
	v_add_f16_sdwa v16, v10, v9 dst_sel:DWORD dst_unused:UNUSED_PAD src0_sel:WORD_1 src1_sel:WORD_1
	v_sub_f16_e32 v17, v9, v10
	v_sub_f16_sdwa v9, v9, v10 dst_sel:DWORD dst_unused:UNUSED_PAD src0_sel:WORD_1 src1_sel:WORD_1
	v_fma_f16 v10, v17, v11, v15
	v_fma_f16 v18, v16, v11, v9
	v_fma_f16 v15, -v17, v11, v15
	v_fma_f16 v9, v16, v11, -v9
	s_waitcnt vmcnt(1)
	v_lshrrev_b32_e32 v11, 16, v13
	v_fma_f16 v10, -v12, v16, v10
	v_fmac_f16_e32 v18, v17, v12
	v_fmac_f16_e32 v15, v12, v16
	;; [unrolled: 1-line block ×3, first 2 shown]
	v_pack_b32_f16 v10, v10, v18
	v_pack_b32_f16 v9, v15, v9
	ds_write_b32 v0, v10 offset:1456
	ds_write_b32 v8, v9 offset:6552
	ds_read_b32 v9, v0 offset:2184
	ds_read_b32 v10, v8 offset:5824
	s_waitcnt lgkmcnt(0)
	v_add_f16_e32 v12, v9, v10
	v_add_f16_sdwa v15, v10, v9 dst_sel:DWORD dst_unused:UNUSED_PAD src0_sel:WORD_1 src1_sel:WORD_1
	v_sub_f16_e32 v16, v9, v10
	v_sub_f16_sdwa v9, v9, v10 dst_sel:DWORD dst_unused:UNUSED_PAD src0_sel:WORD_1 src1_sel:WORD_1
	v_fma_f16 v10, v16, v11, v12
	v_fma_f16 v17, v15, v11, v9
	v_fma_f16 v12, -v16, v11, v12
	v_fma_f16 v9, v15, v11, -v9
	s_waitcnt vmcnt(0)
	v_lshrrev_b32_e32 v11, 16, v14
	v_fma_f16 v10, -v13, v15, v10
	v_fmac_f16_e32 v17, v16, v13
	v_fmac_f16_e32 v12, v13, v15
	;; [unrolled: 1-line block ×3, first 2 shown]
	v_pack_b32_f16 v10, v10, v17
	v_pack_b32_f16 v9, v12, v9
	ds_write_b32 v0, v10 offset:2184
	ds_write_b32 v8, v9 offset:5824
	ds_read_b32 v9, v0 offset:2912
	ds_read_b32 v10, v8 offset:5096
	s_waitcnt lgkmcnt(0)
	v_add_f16_e32 v12, v9, v10
	v_add_f16_sdwa v13, v10, v9 dst_sel:DWORD dst_unused:UNUSED_PAD src0_sel:WORD_1 src1_sel:WORD_1
	v_sub_f16_e32 v15, v9, v10
	v_sub_f16_sdwa v9, v9, v10 dst_sel:DWORD dst_unused:UNUSED_PAD src0_sel:WORD_1 src1_sel:WORD_1
	v_fma_f16 v10, v15, v11, v12
	v_fma_f16 v16, v13, v11, v9
	v_fma_f16 v12, -v15, v11, v12
	v_fma_f16 v9, v13, v11, -v9
	v_fma_f16 v10, -v14, v13, v10
	v_fmac_f16_e32 v16, v15, v14
	v_fmac_f16_e32 v12, v14, v13
	;; [unrolled: 1-line block ×3, first 2 shown]
	v_pack_b32_f16 v10, v10, v16
	v_pack_b32_f16 v9, v12, v9
	ds_write_b32 v0, v10 offset:2912
	ds_write_b32 v8, v9 offset:5096
	s_and_saveexec_b32 s1, s0
	s_cbranch_execz .LBB0_21
; %bb.20:
	global_load_dword v6, v[6:7], off offset:1592
	ds_read_b32 v7, v0 offset:3640
	ds_read_b32 v9, v8 offset:4368
	s_waitcnt lgkmcnt(0)
	v_add_f16_e32 v10, v7, v9
	v_add_f16_sdwa v11, v9, v7 dst_sel:DWORD dst_unused:UNUSED_PAD src0_sel:WORD_1 src1_sel:WORD_1
	v_sub_f16_e32 v12, v7, v9
	v_sub_f16_sdwa v7, v7, v9 dst_sel:DWORD dst_unused:UNUSED_PAD src0_sel:WORD_1 src1_sel:WORD_1
	s_waitcnt vmcnt(0)
	v_lshrrev_b32_e32 v13, 16, v6
	v_fma_f16 v9, v12, v13, v10
	v_fma_f16 v14, v11, v13, v7
	v_fma_f16 v10, -v12, v13, v10
	v_fma_f16 v7, v11, v13, -v7
	v_fma_f16 v9, -v6, v11, v9
	v_fmac_f16_e32 v14, v12, v6
	v_fmac_f16_e32 v10, v6, v11
	v_fmac_f16_e32 v7, v12, v6
	v_pack_b32_f16 v6, v9, v14
	v_pack_b32_f16 v7, v10, v7
	ds_write_b32 v0, v6 offset:3640
	ds_write_b32 v8, v7 offset:4368
.LBB0_21:
	s_or_b32 exec_lo, exec_lo, s1
	v_add_nc_u32_e32 v6, 0xf00, v0
	s_waitcnt lgkmcnt(0)
	s_barrier
	buffer_gl0_inv
	s_barrier
	buffer_gl0_inv
	ds_read2_b32 v[19:20], v0 offset1:182
	ds_read2_b32 v[7:8], v6 offset0:41 offset1:223
	v_add_nc_u32_e32 v9, 0xb00, v0
	v_add_nc_u32_e32 v6, 0x1a00, v0
	;; [unrolled: 1-line block ×5, first 2 shown]
	ds_read2_b32 v[21:22], v9 offset0:24 offset1:206
	ds_read2_b32 v[9:10], v6 offset0:65 offset1:247
	;; [unrolled: 1-line block ×4, first 2 shown]
	v_lshl_add_u32 v6, v5, 3, 0
	v_lshl_add_u32 v25, v5, 2, v0
	;; [unrolled: 1-line block ×3, first 2 shown]
	s_waitcnt lgkmcnt(0)
	s_barrier
	v_add_nc_u32_e32 v27, 0xb60, v6
	v_add_nc_u32_e32 v28, 0x1110, v6
	;; [unrolled: 1-line block ×3, first 2 shown]
	buffer_gl0_inv
	v_lshrrev_b32_e32 v14, 16, v19
	v_pk_add_f16 v7, v19, v7 neg_lo:[0,1] neg_hi:[0,1]
	v_pk_add_f16 v17, v20, v8 neg_lo:[0,1] neg_hi:[0,1]
	v_lshrrev_b32_e32 v29, 16, v7
	v_pk_add_f16 v11, v21, v9 neg_lo:[0,1] neg_hi:[0,1]
	v_pk_add_f16 v9, v22, v10 neg_lo:[0,1] neg_hi:[0,1]
	;; [unrolled: 1-line block ×4, first 2 shown]
	v_fma_f16 v6, v14, 2.0, -v29
	v_fma_f16 v8, v19, 2.0, -v7
	v_pk_fma_f16 v10, v21, 2.0, v11 op_sel_hi:[1,0,1] neg_lo:[0,0,1] neg_hi:[0,0,1]
	v_pk_fma_f16 v16, v20, 2.0, v17 op_sel_hi:[1,0,1] neg_lo:[0,0,1] neg_hi:[0,0,1]
	;; [unrolled: 1-line block ×3, first 2 shown]
	v_lshlrev_b32_e32 v6, 16, v6
	v_pk_fma_f16 v12, v24, 2.0, v13 op_sel_hi:[1,0,1] neg_lo:[0,0,1] neg_hi:[0,0,1]
	v_or_b32_sdwa v6, v6, v8 dst_sel:DWORD dst_unused:UNUSED_PAD src0_sel:DWORD src1_sel:WORD_0
	v_pk_fma_f16 v8, v22, 2.0, v9 op_sel_hi:[1,0,1] neg_lo:[0,0,1] neg_hi:[0,0,1]
	ds_write2_b32 v26, v16, v17 offset1:1
	ds_write2_b32 v27, v14, v15 offset1:1
	;; [unrolled: 1-line block ×5, first 2 shown]
	s_and_saveexec_b32 s1, s0
	s_cbranch_execz .LBB0_23
; %bb.22:
	v_lshlrev_b32_e32 v19, 3, v5
	v_add3_u32 v19, v19, 0, 0x1c70
	ds_write2_b32 v19, v8, v9 offset1:1
.LBB0_23:
	s_or_b32 exec_lo, exec_lo, s1
	v_cmp_gt_u32_e64 s0, 0x9a, v5
	v_lshrrev_b32_e32 v34, 16, v16
	v_lshrrev_b32_e32 v35, 16, v17
	;; [unrolled: 1-line block ×6, first 2 shown]
	s_waitcnt lgkmcnt(0)
	s_barrier
	buffer_gl0_inv
                                        ; implicit-def: $vgpr33
                                        ; implicit-def: $vgpr31
	s_and_saveexec_b32 s1, s0
	s_cbranch_execz .LBB0_25
; %bb.24:
	v_add_nc_u32_e32 v8, 0x400, v0
	v_add_nc_u32_e32 v10, 0xe00, v0
	;; [unrolled: 1-line block ×3, first 2 shown]
	ds_read2_b32 v[6:7], v0 offset1:154
	ds_read_b32 v31, v0 offset:7392
	ds_read2_b32 v[16:17], v8 offset0:52 offset1:206
	ds_read2_b32 v[14:15], v9 offset0:40 offset1:194
	v_add_nc_u32_e32 v8, 0x1200, v0
	ds_read2_b32 v[12:13], v10 offset0:28 offset1:182
	v_add_nc_u32_e32 v9, 0x1800, v0
	ds_read2_b32 v[10:11], v8 offset0:80 offset1:234
	ds_read2_b32 v[8:9], v9 offset0:4 offset1:158
	s_waitcnt lgkmcnt(6)
	v_lshrrev_b32_e32 v29, 16, v7
	s_waitcnt lgkmcnt(5)
	v_lshrrev_b32_e32 v33, 16, v31
	;; [unrolled: 2-line block ×3, first 2 shown]
	v_lshrrev_b32_e32 v35, 16, v17
	s_waitcnt lgkmcnt(3)
	v_lshrrev_b32_e32 v36, 16, v14
	v_lshrrev_b32_e32 v38, 16, v15
	s_waitcnt lgkmcnt(2)
	v_lshrrev_b32_e32 v45, 16, v12
	v_lshrrev_b32_e32 v46, 16, v13
.LBB0_25:
	s_or_b32 exec_lo, exec_lo, s1
	v_and_b32_e32 v19, 1, v5
	s_waitcnt lgkmcnt(0)
	v_lshrrev_b32_e32 v61, 16, v8
	v_lshrrev_b32_e32 v62, 16, v9
	;; [unrolled: 1-line block ×4, first 2 shown]
	v_mul_u32_u24_e32 v20, 12, v19
	v_lshlrev_b32_e32 v20, 2, v20
	s_clause 0x2
	global_load_dwordx4 v[47:50], v20, s[12:13]
	global_load_dwordx4 v[51:54], v20, s[12:13] offset:16
	global_load_dwordx4 v[55:58], v20, s[12:13] offset:32
	s_waitcnt vmcnt(0)
	s_barrier
	buffer_gl0_inv
	v_mul_f16_sdwa v39, v29, v47 dst_sel:DWORD dst_unused:UNUSED_PAD src0_sel:DWORD src1_sel:WORD_1
	v_mul_f16_sdwa v37, v7, v47 dst_sel:DWORD dst_unused:UNUSED_PAD src0_sel:DWORD src1_sel:WORD_1
	v_mul_f16_sdwa v41, v35, v49 dst_sel:DWORD dst_unused:UNUSED_PAD src0_sel:DWORD src1_sel:WORD_1
	v_mul_f16_sdwa v70, v33, v58 dst_sel:DWORD dst_unused:UNUSED_PAD src0_sel:DWORD src1_sel:WORD_1
	v_mul_f16_sdwa v21, v31, v58 dst_sel:DWORD dst_unused:UNUSED_PAD src0_sel:DWORD src1_sel:WORD_1
	v_mul_f16_sdwa v40, v34, v48 dst_sel:DWORD dst_unused:UNUSED_PAD src0_sel:DWORD src1_sel:WORD_1
	v_mul_f16_sdwa v32, v16, v48 dst_sel:DWORD dst_unused:UNUSED_PAD src0_sel:DWORD src1_sel:WORD_1
	v_mul_f16_sdwa v30, v17, v49 dst_sel:DWORD dst_unused:UNUSED_PAD src0_sel:DWORD src1_sel:WORD_1
	v_mul_f16_sdwa v26, v12, v52 dst_sel:DWORD dst_unused:UNUSED_PAD src0_sel:DWORD src1_sel:WORD_1
	v_mul_f16_sdwa v25, v13, v53 dst_sel:DWORD dst_unused:UNUSED_PAD src0_sel:DWORD src1_sel:WORD_1
	v_mul_f16_sdwa v68, v61, v56 dst_sel:DWORD dst_unused:UNUSED_PAD src0_sel:DWORD src1_sel:WORD_1
	v_mul_f16_sdwa v22, v8, v56 dst_sel:DWORD dst_unused:UNUSED_PAD src0_sel:DWORD src1_sel:WORD_1
	v_mul_f16_sdwa v69, v62, v57 dst_sel:DWORD dst_unused:UNUSED_PAD src0_sel:DWORD src1_sel:WORD_1
	v_mul_f16_sdwa v20, v9, v57 dst_sel:DWORD dst_unused:UNUSED_PAD src0_sel:DWORD src1_sel:WORD_1
	v_fma_f16 v41, v17, v49, -v41
	v_fmac_f16_e32 v37, v29, v47
	v_fma_f16 v44, v7, v47, -v39
	v_fma_f16 v17, v31, v58, -v70
	v_fmac_f16_e32 v21, v33, v58
	v_mul_f16_sdwa v42, v36, v50 dst_sel:DWORD dst_unused:UNUSED_PAD src0_sel:DWORD src1_sel:WORD_1
	v_mul_f16_sdwa v28, v14, v50 dst_sel:DWORD dst_unused:UNUSED_PAD src0_sel:DWORD src1_sel:WORD_1
	;; [unrolled: 1-line block ×10, first 2 shown]
	v_fma_f16 v43, v16, v48, -v40
	v_fmac_f16_e32 v32, v34, v48
	v_fmac_f16_e32 v30, v35, v49
	;; [unrolled: 1-line block ×4, first 2 shown]
	v_fma_f16 v34, v8, v56, -v68
	v_fmac_f16_e32 v22, v61, v56
	v_fma_f16 v33, v9, v57, -v69
	v_fmac_f16_e32 v20, v62, v57
	v_sub_f16_e32 v7, v44, v17
	v_sub_f16_e32 v8, v37, v21
	v_fma_f16 v42, v14, v50, -v42
	v_fmac_f16_e32 v28, v36, v50
	v_fma_f16 v40, v15, v51, -v63
	v_fmac_f16_e32 v27, v38, v51
	v_fma_f16 v39, v12, v52, -v64
	v_fma_f16 v38, v13, v53, -v65
	;; [unrolled: 1-line block ×3, first 2 shown]
	v_fmac_f16_e32 v24, v59, v54
	v_fma_f16 v35, v11, v55, -v67
	v_fmac_f16_e32 v23, v60, v55
	v_add_f16_e32 v60, v44, v17
	v_add_f16_e32 v56, v37, v21
	v_sub_f16_e32 v9, v43, v33
	v_sub_f16_e32 v10, v32, v20
	;; [unrolled: 1-line block ×5, first 2 shown]
	v_mul_f16_e32 v45, 0xb770, v8
	v_mul_f16_e32 v48, 0xb770, v7
	;; [unrolled: 1-line block ×12, first 2 shown]
	v_add_f16_e32 v51, v43, v33
	v_add_f16_e32 v52, v32, v20
	v_sub_f16_e32 v13, v28, v23
	v_sub_f16_e32 v14, v42, v35
	;; [unrolled: 1-line block ×5, first 2 shown]
	v_mul_f16_e32 v46, 0xba95, v10
	v_mul_f16_e32 v49, 0xba95, v9
	;; [unrolled: 1-line block ×30, first 2 shown]
	v_fmamk_f16 v7, v60, 0x3b15, v45
	v_fma_f16 v8, v56, 0x3b15, -v48
	v_fmamk_f16 v9, v60, 0x388b, v65
	v_fma_f16 v10, v56, 0x388b, -v72
	;; [unrolled: 2-line block ×6, first 2 shown]
	v_add_f16_e32 v64, v41, v34
	v_add_f16_e32 v67, v30, v22
	v_mul_f16_e32 v50, 0xbb7b, v13
	v_mul_f16_e32 v57, 0xbb7b, v14
	;; [unrolled: 1-line block ×30, first 2 shown]
	v_fmamk_f16 v13, v51, 0x388b, v46
	v_fma_f16 v14, v52, 0x388b, -v49
	v_fmamk_f16 v15, v51, 0xb5ac, v66
	v_fma_f16 v16, v52, 0xb5ac, -v73
	;; [unrolled: 2-line block ×6, first 2 shown]
	v_add_f16_e32 v7, v7, v6
	v_add_f16_sdwa v8, v8, v6 dst_sel:DWORD dst_unused:UNUSED_PAD src0_sel:DWORD src1_sel:WORD_1
	v_add_f16_e32 v9, v9, v6
	v_add_f16_sdwa v10, v10, v6 dst_sel:DWORD dst_unused:UNUSED_PAD src0_sel:DWORD src1_sel:WORD_1
	;; [unrolled: 2-line block ×6, first 2 shown]
	v_add_f16_e32 v70, v42, v35
	v_add_f16_e32 v71, v28, v23
	v_fmamk_f16 v141, v64, 0x2fb7, v47
	v_fma_f16 v142, v67, 0x2fb7, -v53
	v_fmamk_f16 v143, v64, 0xbbc4, v69
	v_add_f16_e32 v7, v13, v7
	v_fma_f16 v13, v67, 0xbbc4, -v77
	v_add_f16_e32 v8, v14, v8
	v_fmamk_f16 v14, v64, 0xb5ac, v80
	v_add_f16_e32 v9, v15, v9
	v_fma_f16 v15, v67, 0xb5ac, -v91
	v_add_f16_e32 v10, v16, v10
	v_fmamk_f16 v16, v64, 0x3b15, v96
	v_add_f16_e32 v11, v31, v11
	v_fma_f16 v31, v67, 0x3b15, -v104
	v_add_f16_e32 v12, v129, v12
	v_fmamk_f16 v129, v64, 0x388b, v108
	v_add_f16_e32 v29, v130, v29
	v_fma_f16 v130, v67, 0x388b, -v113
	v_add_f16_e32 v131, v132, v131
	v_fmamk_f16 v132, v64, 0xb9fd, v119
	v_add_f16_e32 v133, v134, v133
	v_fma_f16 v134, v67, 0xb9fd, -v125
	v_add_f16_e32 v135, v136, v135
	v_add_f16_e32 v137, v138, v137
	v_add_f16_e32 v139, v140, v139
	v_add_f16_e32 v75, v40, v36
	v_add_f16_e32 v78, v27, v24
	v_fmamk_f16 v136, v70, 0xb5ac, v50
	v_fma_f16 v138, v71, 0xb5ac, -v57
	v_fmamk_f16 v140, v70, 0xb9fd, v62
	v_add_f16_e32 v7, v141, v7
	v_fma_f16 v141, v71, 0xb9fd, -v76
	v_add_f16_e32 v8, v142, v8
	v_fmamk_f16 v142, v70, 0x3b15, v83
	v_add_f16_e32 v9, v143, v9
	v_fma_f16 v143, v71, 0x3b15, -v90
	v_add_f16_e32 v10, v13, v10
	v_fmamk_f16 v13, v70, 0x2fb7, v93
	v_add_f16_e32 v11, v14, v11
	v_fma_f16 v14, v71, 0x2fb7, -v100
	v_add_f16_e32 v12, v15, v12
	v_fmamk_f16 v15, v70, 0xbbc4, v109
	v_add_f16_e32 v16, v16, v29
	v_fma_f16 v29, v71, 0xbbc4, -v114
	v_add_f16_e32 v31, v31, v131
	v_fmamk_f16 v131, v70, 0x388b, v121
	v_add_f16_e32 v129, v129, v133
	v_fma_f16 v133, v71, 0x388b, -v126
	v_add_f16_e32 v130, v130, v135
	v_add_f16_e32 v132, v132, v137
	v_add_f16_e32 v134, v134, v139
	;; [unrolled: 26-line block ×3, first 2 shown]
	v_fmamk_f16 v130, v84, 0xbbc4, v55
	v_fma_f16 v132, v86, 0xbbc4, -v58
	v_fmamk_f16 v134, v84, 0x3b15, v61
	v_add_f16_e32 v7, v135, v7
	v_fma_f16 v135, v86, 0x3b15, -v68
	v_add_f16_e32 v8, v137, v8
	v_fmamk_f16 v137, v84, 0xb9fd, v85
	v_add_f16_e32 v9, v139, v9
	v_fma_f16 v139, v86, 0xb9fd, -v92
	v_add_f16_e32 v136, v136, v10
	;; [unrolled: 4-line block ×5, first 2 shown]
	v_add_f16_e32 v131, v31, v131
	v_add_f16_e32 v129, v129, v133
	;; [unrolled: 1-line block ×14, first 2 shown]
	s_and_saveexec_b32 s1, s0
	s_cbranch_execz .LBB0_27
; %bb.26:
	v_mul_f16_e32 v129, 0xbbc4, v56
	v_mul_f16_e32 v133, 0x3b15, v52
	;; [unrolled: 1-line block ×5, first 2 shown]
	v_add_f16_e32 v127, v127, v129
	v_add_f16_e32 v124, v124, v133
	;; [unrolled: 1-line block ×4, first 2 shown]
	v_mul_f16_e32 v129, 0x388b, v56
	v_add_f16_sdwa v127, v127, v6 dst_sel:DWORD dst_unused:UNUSED_PAD src0_sel:DWORD src1_sel:WORD_1
	v_mul_f16_e32 v133, 0x2fb7, v56
	v_mul_f16_e32 v135, 0xb5ac, v56
	;; [unrolled: 1-line block ×4, first 2 shown]
	v_add_f16_e32 v124, v124, v127
	v_mul_f16_e32 v127, 0xbbc4, v60
	v_mul_f16_e32 v132, 0x388b, v60
	v_add_f16_e32 v56, v115, v56
	v_mul_f16_e32 v115, 0xb5ac, v75
	v_add_f16_e32 v124, v125, v124
	v_sub_f16_e32 v120, v127, v120
	v_mul_f16_e32 v127, 0xb5ac, v78
	v_mul_f16_e32 v125, 0x3b15, v51
	v_add_f16_sdwa v56, v56, v6 dst_sel:DWORD dst_unused:UNUSED_PAD src0_sel:DWORD src1_sel:WORD_1
	v_add_f16_e32 v124, v126, v124
	v_add_f16_e32 v120, v120, v6
	;; [unrolled: 1-line block ×3, first 2 shown]
	v_sub_f16_e32 v118, v125, v118
	v_mul_f16_e32 v125, 0xb9fd, v64
	v_sub_f16_e32 v115, v115, v117
	v_mul_f16_e32 v117, 0x388b, v67
	v_add_f16_e32 v123, v123, v124
	v_mul_f16_e32 v124, 0x2fb7, v86
	v_add_f16_e32 v118, v118, v120
	v_sub_f16_e32 v119, v125, v119
	v_mul_f16_e32 v125, 0x388b, v70
	v_add_f16_e32 v113, v113, v117
	v_add_f16_e32 v124, v128, v124
	v_mul_f16_e32 v128, 0x2fb7, v52
	v_add_f16_e32 v118, v119, v118
	v_sub_f16_e32 v121, v125, v121
	v_mul_f16_e32 v134, 0x2fb7, v60
	v_add_f16_e32 v123, v124, v123
	v_add_f16_e32 v112, v112, v128
	v_mul_f16_e32 v124, 0xbbc4, v71
	v_mul_f16_e32 v137, 0xb5ac, v60
	v_mul_f16_e32 v60, 0xb9fd, v60
	v_add_f16_e32 v118, v121, v118
	v_add_f16_e32 v56, v112, v56
	;; [unrolled: 1-line block ×3, first 2 shown]
	v_mul_f16_e32 v126, 0x388b, v51
	v_mul_f16_e32 v120, 0xb5ac, v51
	;; [unrolled: 1-line block ×3, first 2 shown]
	v_add_f16_e32 v56, v113, v56
	v_mul_f16_e32 v128, 0xb9fd, v51
	v_mul_f16_e32 v51, 0x2fb7, v51
	v_add_f16_e32 v115, v115, v118
	v_mul_f16_e32 v118, 0x2fb7, v84
	v_sub_f16_e32 v60, v60, v110
	v_add_f16_e32 v56, v114, v56
	v_mul_f16_e32 v114, 0x3b15, v78
	v_mul_f16_e32 v127, 0x388b, v52
	v_mul_f16_e32 v119, 0xb5ac, v52
	v_mul_f16_e32 v121, 0xbbc4, v52
	v_mul_f16_e32 v52, 0xb9fd, v52
	v_mul_f16_e32 v112, 0x2fb7, v64
	v_mul_f16_e32 v113, 0xbbc4, v64
	v_sub_f16_e32 v118, v118, v122
	v_mul_f16_e32 v122, 0xb5ac, v64
	v_sub_f16_e32 v51, v51, v107
	v_mul_f16_e32 v107, 0x3b15, v64
	v_add_f16_e32 v60, v60, v6
	v_mul_f16_e32 v64, 0x388b, v64
	v_add_f16_e32 v111, v111, v114
	v_add_f16_e32 v106, v106, v135
	v_mul_f16_e32 v117, 0x2fb7, v67
	v_mul_f16_e32 v124, 0xbbc4, v67
	;; [unrolled: 1-line block ×4, first 2 shown]
	v_add_f16_e32 v51, v51, v60
	v_mul_f16_e32 v60, 0xb5ac, v86
	v_sub_f16_e32 v64, v64, v108
	v_add_f16_e32 v56, v111, v56
	v_mul_f16_e32 v111, 0xbbc4, v70
	v_add_f16_e32 v52, v102, v52
	v_add_f16_sdwa v106, v106, v6 dst_sel:DWORD dst_unused:UNUSED_PAD src0_sel:DWORD src1_sel:WORD_1
	v_sub_f16_e32 v65, v132, v65
	v_add_f16_sdwa v37, v37, v6 dst_sel:DWORD dst_unused:UNUSED_PAD src0_sel:DWORD src1_sel:WORD_1
	v_add_f16_e32 v44, v44, v6
	v_mul_f16_e32 v108, 0xb5ac, v71
	v_add_f16_e32 v60, v116, v60
	v_add_f16_e32 v51, v64, v51
	v_mul_f16_e32 v64, 0xb9fd, v71
	v_sub_f16_e32 v109, v111, v109
	v_mul_f16_e32 v135, 0x3b15, v71
	v_mul_f16_e32 v71, 0x2fb7, v71
	v_add_f16_e32 v52, v52, v106
	v_add_f16_e32 v67, v104, v67
	v_sub_f16_e32 v94, v137, v94
	v_mul_f16_e32 v136, 0x3b15, v75
	v_add_f16_e32 v65, v65, v6
	v_sub_f16_e32 v66, v120, v66
	v_add_f16_e32 v32, v37, v32
	v_add_f16_e32 v37, v44, v43
	v_mul_f16_e32 v116, 0xb9fd, v70
	v_add_f16_e32 v56, v60, v56
	v_mul_f16_e32 v60, 0xb9fd, v78
	;; [unrolled: 2-line block ×3, first 2 shown]
	v_sub_f16_e32 v95, v128, v95
	v_mul_f16_e32 v128, 0x388b, v78
	v_mul_f16_e32 v78, 0xbbc4, v78
	v_sub_f16_e32 v105, v136, v105
	v_add_f16_e32 v94, v94, v6
	v_add_f16_e32 v52, v67, v52
	;; [unrolled: 1-line block ×4, first 2 shown]
	v_sub_f16_e32 v66, v113, v69
	v_add_f16_e32 v30, v32, v30
	v_add_f16_e32 v32, v37, v41
	v_mul_f16_e32 v109, 0x2fb7, v75
	v_mul_f16_e32 v67, 0xbbc4, v86
	v_add_f16_e32 v94, v95, v94
	v_mul_f16_e32 v95, 0x3b15, v86
	v_add_f16_e32 v51, v105, v51
	v_mul_f16_e32 v105, 0xb9fd, v86
	v_mul_f16_e32 v86, 0x388b, v86
	v_add_f16_e32 v52, v71, v52
	v_add_f16_e32 v71, v99, v78
	;; [unrolled: 1-line block ×3, first 2 shown]
	v_sub_f16_e32 v62, v116, v62
	v_add_f16_e32 v28, v30, v28
	v_add_f16_e32 v30, v32, v42
	;; [unrolled: 1-line block ×6, first 2 shown]
	v_sub_f16_e32 v37, v109, v63
	v_add_f16_e32 v27, v28, v27
	v_add_f16_e32 v28, v30, v40
	v_mul_f16_e32 v114, 0xb5ac, v70
	v_mul_f16_e32 v111, 0x3b15, v70
	;; [unrolled: 1-line block ×3, first 2 shown]
	v_sub_f16_e32 v96, v107, v96
	v_add_f16_e32 v88, v88, v133
	v_add_f16_e32 v52, v71, v52
	v_sub_f16_e32 v71, v134, v79
	v_add_f16_e32 v72, v72, v129
	v_add_f16_e32 v32, v37, v48
	v_sub_f16_e32 v37, v130, v45
	v_add_f16_e32 v26, v27, v26
	v_add_f16_e32 v27, v28, v39
	v_mul_f16_e32 v102, 0xb9fd, v75
	v_mul_f16_e32 v104, 0x388b, v75
	v_mul_f16_e32 v75, 0xbbc4, v75
	v_add_f16_e32 v78, v96, v94
	v_sub_f16_e32 v70, v70, v93
	v_add_f16_sdwa v88, v88, v6 dst_sel:DWORD dst_unused:UNUSED_PAD src0_sel:DWORD src1_sel:WORD_1
	v_add_f16_e32 v87, v87, v121
	v_add_f16_e32 v71, v71, v6
	v_sub_f16_e32 v74, v125, v74
	v_add_f16_sdwa v72, v72, v6 dst_sel:DWORD dst_unused:UNUSED_PAD src0_sel:DWORD src1_sel:WORD_1
	v_add_f16_e32 v73, v73, v119
	v_add_f16_sdwa v41, v44, v6 dst_sel:DWORD dst_unused:UNUSED_PAD src0_sel:DWORD src1_sel:WORD_1
	v_add_f16_e32 v44, v49, v127
	v_add_f16_e32 v6, v37, v6
	v_sub_f16_e32 v37, v126, v46
	v_add_f16_e32 v25, v26, v25
	v_add_f16_e32 v26, v27, v38
	v_add_f16_e32 v70, v70, v78
	v_sub_f16_e32 v75, v75, v97
	v_add_f16_e32 v78, v87, v88
	;; [unrolled: 4-line block ×3, first 2 shown]
	v_add_f16_e32 v73, v77, v124
	v_add_f16_e32 v41, v44, v41
	;; [unrolled: 1-line block ×4, first 2 shown]
	v_sub_f16_e32 v27, v112, v47
	v_add_f16_e32 v24, v25, v24
	v_add_f16_e32 v25, v26, v36
	;; [unrolled: 1-line block ×6, first 2 shown]
	v_sub_f16_e32 v74, v111, v83
	v_add_f16_e32 v72, v73, v72
	v_add_f16_e32 v64, v76, v64
	;; [unrolled: 1-line block ×5, first 2 shown]
	v_sub_f16_e32 v26, v114, v50
	v_add_f16_e32 v23, v24, v23
	v_add_f16_e32 v24, v25, v35
	v_mul_f16_e32 v136, 0xbbc4, v84
	v_mul_f16_e32 v100, 0x3b15, v84
	;; [unrolled: 1-line block ×3, first 2 shown]
	v_add_f16_e32 v75, v78, v75
	v_add_f16_e32 v78, v89, v128
	;; [unrolled: 1-line block ×3, first 2 shown]
	v_sub_f16_e32 v73, v104, v82
	v_add_f16_e32 v64, v64, v72
	v_add_f16_e32 v72, v81, v106
	;; [unrolled: 1-line block ×5, first 2 shown]
	v_sub_f16_e32 v26, v102, v54
	v_add_f16_e32 v22, v23, v22
	v_add_f16_e32 v23, v24, v34
	v_lshrrev_b32_e32 v24, 1, v5
	v_mul_f16_e32 v133, 0x388b, v84
	v_mul_f16_e32 v84, 0xb5ac, v84
	v_add_f16_e32 v75, v78, v75
	v_add_f16_e32 v78, v92, v105
	v_add_f16_e32 v71, v73, v71
	v_sub_f16_e32 v73, v107, v85
	v_add_f16_e32 v64, v72, v64
	v_add_f16_e32 v68, v68, v95
	v_sub_f16_e32 v27, v100, v61
	v_add_f16_e32 v25, v30, v28
	v_add_f16_e32 v28, v58, v67
	;; [unrolled: 1-line block ×5, first 2 shown]
	v_mul_u32_u24_e32 v23, 26, v24
	v_sub_f16_e32 v24, v136, v55
	v_sub_f16_e32 v84, v84, v101
	;; [unrolled: 1-line block ×3, first 2 shown]
	v_add_f16_e32 v75, v78, v75
	v_add_f16_e32 v43, v68, v64
	;; [unrolled: 1-line block ×3, first 2 shown]
	v_add_f16_sdwa v20, v20, v21 dst_sel:WORD_1 dst_unused:UNUSED_PAD src0_sel:DWORD src1_sel:DWORD
	v_add_f16_e32 v17, v22, v17
	v_or_b32_e32 v19, v23, v19
	v_add_f16_e32 v6, v24, v6
	v_add_f16_e32 v21, v27, v32
	;; [unrolled: 1-line block ×3, first 2 shown]
	v_or_b32_sdwa v17, v20, v17 dst_sel:DWORD dst_unused:UNUSED_PAD src0_sel:DWORD src1_sel:WORD_0
	v_lshl_add_u32 v19, v19, 2, 0
	v_pack_b32_f16 v6, v6, v25
	v_pack_b32_f16 v20, v21, v43
	;; [unrolled: 1-line block ×3, first 2 shown]
	v_add_f16_e32 v22, v79, v70
	v_add_f16_e32 v23, v84, v51
	;; [unrolled: 1-line block ×3, first 2 shown]
	ds_write2_b32 v19, v17, v6 offset1:2
	ds_write2_b32 v19, v20, v21 offset0:4 offset1:6
	v_perm_b32 v21, v8, v7, 0x5040100
	v_pack_b32_f16 v6, v22, v52
	v_pack_b32_f16 v17, v23, v56
	;; [unrolled: 1-line block ×3, first 2 shown]
	v_perm_b32 v22, v31, v29, 0x5040100
	v_perm_b32 v23, v12, v16, 0x5040100
	;; [unrolled: 1-line block ×5, first 2 shown]
	ds_write2_b32 v19, v6, v17 offset0:8 offset1:10
	ds_write2_b32 v19, v20, v21 offset0:12 offset1:14
	;; [unrolled: 1-line block ×4, first 2 shown]
	ds_write_b32 v19, v26 offset:96
.LBB0_27:
	s_or_b32 exec_lo, exec_lo, s1
	s_waitcnt lgkmcnt(0)
	s_barrier
	buffer_gl0_inv
	ds_read_b32 v19, v0
	ds_read_b32 v27, v0 offset:1144
	ds_read_b32 v26, v0 offset:2288
	;; [unrolled: 1-line block ×6, first 2 shown]
	v_cmp_gt_u32_e64 s0, 0x68, v5
                                        ; implicit-def: $vgpr17
                                        ; implicit-def: $vgpr6
	s_and_saveexec_b32 s1, s0
	s_cbranch_execz .LBB0_29
; %bb.28:
	ds_read_b32 v7, v0 offset:728
	ds_read_b32 v9, v0 offset:4160
	;; [unrolled: 1-line block ×6, first 2 shown]
	ds_read_u16 v12, v0 offset:3018
	ds_read_b32 v16, v0 offset:3016
	s_waitcnt lgkmcnt(7)
	v_lshrrev_b32_e32 v8, 16, v7
	s_waitcnt lgkmcnt(6)
	v_lshrrev_b32_e32 v15, 16, v9
	;; [unrolled: 2-line block ×6, first 2 shown]
.LBB0_29:
	s_or_b32 exec_lo, exec_lo, s1
	v_and_b32_e32 v20, 0xff, v5
	v_mov_b32_e32 v38, 0x2d8
	s_waitcnt lgkmcnt(5)
	v_lshrrev_b32_e32 v39, 16, v27
	s_waitcnt lgkmcnt(4)
	v_lshrrev_b32_e32 v40, 16, v26
	;; [unrolled: 2-line block ×3, first 2 shown]
	v_mul_lo_u16 v20, 0x4f, v20
	s_waitcnt lgkmcnt(0)
	v_lshrrev_b32_e32 v43, 16, v25
	v_lshrrev_b32_e32 v41, 16, v23
	v_lshrrev_b16 v28, 11, v20
	v_mov_b32_e32 v20, 6
	v_mul_lo_u16 v21, v28, 26
	v_mul_u32_u24_sdwa v28, v28, v38 dst_sel:DWORD dst_unused:UNUSED_PAD src0_sel:WORD_0 src1_sel:DWORD
	v_lshrrev_b32_e32 v38, 16, v24
	v_sub_nc_u16 v30, v5, v21
	v_mul_u32_u24_sdwa v21, v30, v20 dst_sel:DWORD dst_unused:UNUSED_PAD src0_sel:BYTE_0 src1_sel:DWORD
	v_lshlrev_b32_e32 v21, 2, v21
	s_clause 0x1
	global_load_dwordx4 v[32:35], v21, s[12:13] offset:96
	global_load_dwordx2 v[36:37], v21, s[12:13] offset:112
	v_mov_b32_e32 v21, 2
	s_waitcnt vmcnt(0)
	s_barrier
	buffer_gl0_inv
	v_lshlrev_b32_sdwa v30, v21, v30 dst_sel:DWORD dst_unused:UNUSED_PAD src0_sel:DWORD src1_sel:BYTE_0
	v_add3_u32 v28, 0, v28, v30
	v_mul_f16_sdwa v30, v32, v39 dst_sel:DWORD dst_unused:UNUSED_PAD src0_sel:WORD_1 src1_sel:DWORD
	v_mul_f16_sdwa v44, v32, v27 dst_sel:DWORD dst_unused:UNUSED_PAD src0_sel:WORD_1 src1_sel:DWORD
	v_mul_f16_sdwa v45, v33, v40 dst_sel:DWORD dst_unused:UNUSED_PAD src0_sel:WORD_1 src1_sel:DWORD
	v_mul_f16_sdwa v46, v33, v26 dst_sel:DWORD dst_unused:UNUSED_PAD src0_sel:WORD_1 src1_sel:DWORD
	v_mul_f16_sdwa v51, v36, v42 dst_sel:DWORD dst_unused:UNUSED_PAD src0_sel:WORD_1 src1_sel:DWORD
	v_mul_f16_sdwa v52, v36, v22 dst_sel:DWORD dst_unused:UNUSED_PAD src0_sel:WORD_1 src1_sel:DWORD
	v_mul_f16_sdwa v53, v37, v43 dst_sel:DWORD dst_unused:UNUSED_PAD src0_sel:WORD_1 src1_sel:DWORD
	v_mul_f16_sdwa v54, v37, v25 dst_sel:DWORD dst_unused:UNUSED_PAD src0_sel:WORD_1 src1_sel:DWORD
	v_mul_f16_sdwa v47, v34, v38 dst_sel:DWORD dst_unused:UNUSED_PAD src0_sel:WORD_1 src1_sel:DWORD
	v_mul_f16_sdwa v48, v34, v24 dst_sel:DWORD dst_unused:UNUSED_PAD src0_sel:WORD_1 src1_sel:DWORD
	v_mul_f16_sdwa v49, v35, v41 dst_sel:DWORD dst_unused:UNUSED_PAD src0_sel:WORD_1 src1_sel:DWORD
	v_mul_f16_sdwa v50, v35, v23 dst_sel:DWORD dst_unused:UNUSED_PAD src0_sel:WORD_1 src1_sel:DWORD
	v_fma_f16 v27, v32, v27, -v30
	v_fmac_f16_e32 v44, v32, v39
	v_fma_f16 v26, v33, v26, -v45
	v_fmac_f16_e32 v46, v33, v40
	;; [unrolled: 2-line block ×6, first 2 shown]
	v_add_f16_e32 v30, v27, v25
	v_add_f16_e32 v32, v44, v54
	;; [unrolled: 1-line block ×4, first 2 shown]
	v_sub_f16_e32 v25, v27, v25
	v_sub_f16_e32 v22, v26, v22
	v_add_f16_e32 v35, v24, v23
	v_add_f16_e32 v36, v48, v50
	v_sub_f16_e32 v23, v23, v24
	v_add_f16_e32 v37, v33, v30
	v_add_f16_e32 v38, v34, v32
	v_sub_f16_e32 v27, v44, v54
	v_sub_f16_e32 v26, v46, v52
	;; [unrolled: 1-line block ×9, first 2 shown]
	v_add_f16_e32 v41, v23, v22
	v_sub_f16_e32 v43, v23, v22
	v_sub_f16_e32 v22, v22, v25
	v_add_f16_e32 v35, v35, v37
	v_add_f16_e32 v36, v36, v38
	;; [unrolled: 1-line block ×3, first 2 shown]
	v_sub_f16_e32 v44, v24, v26
	v_sub_f16_e32 v23, v25, v23
	;; [unrolled: 1-line block ×3, first 2 shown]
	v_add_f16_e32 v25, v41, v25
	v_mul_f16_e32 v30, 0x3a52, v30
	v_mul_f16_e32 v37, 0x2b26, v33
	v_mul_f16_e32 v41, 0xb846, v43
	v_mul_f16_e32 v43, 0x3b00, v22
	v_add_f16_e32 v45, v35, v19
	v_add_f16_sdwa v19, v36, v19 dst_sel:DWORD dst_unused:UNUSED_PAD src0_sel:DWORD src1_sel:WORD_1
	v_sub_f16_e32 v24, v27, v24
	v_add_f16_e32 v27, v42, v27
	v_mul_f16_e32 v32, 0x3a52, v32
	v_mul_f16_e32 v38, 0x2b26, v34
	;; [unrolled: 1-line block ×4, first 2 shown]
	v_fmamk_f16 v33, v33, 0x2b26, v30
	v_fma_f16 v37, v39, 0x39e0, -v37
	v_fma_f16 v30, v39, 0xb9e0, -v30
	v_fmamk_f16 v39, v23, 0x3574, v41
	v_fma_f16 v22, v22, 0x3b00, -v41
	v_fma_f16 v23, v23, 0xb574, -v43
	v_lshlrev_b32_e32 v41, 16, v19
	v_fmamk_f16 v34, v34, 0x2b26, v32
	v_fma_f16 v38, v40, 0x39e0, -v38
	v_fma_f16 v32, v40, 0xb9e0, -v32
	v_fmamk_f16 v40, v24, 0x3574, v42
	v_fma_f16 v26, v26, 0x3b00, -v42
	v_fma_f16 v24, v24, 0xb574, -v44
	v_fmac_f16_e32 v19, 0xbcab, v36
	v_fmac_f16_e32 v39, 0x370e, v25
	;; [unrolled: 1-line block ×4, first 2 shown]
	v_or_b32_sdwa v25, v41, v45 dst_sel:DWORD dst_unused:UNUSED_PAD src0_sel:DWORD src1_sel:WORD_0
	v_fmac_f16_e32 v45, 0xbcab, v35
	v_fmac_f16_e32 v40, 0x370e, v27
	;; [unrolled: 1-line block ×4, first 2 shown]
	v_add_f16_e32 v27, v34, v19
	v_add_f16_e32 v34, v38, v19
	;; [unrolled: 1-line block ×6, first 2 shown]
	v_sub_f16_e32 v35, v27, v39
	v_sub_f16_e32 v36, v19, v23
	v_add_f16_e32 v19, v23, v19
	v_add_f16_e32 v23, v39, v27
	;; [unrolled: 1-line block ×4, first 2 shown]
	v_sub_f16_e32 v22, v34, v22
	v_add_f16_e32 v34, v24, v30
	v_sub_f16_e32 v38, v33, v26
	v_add_f16_e32 v26, v26, v33
	v_sub_f16_e32 v24, v30, v24
	v_sub_f16_e32 v30, v32, v40
	v_pack_b32_f16 v27, v27, v35
	v_pack_b32_f16 v32, v34, v36
	;; [unrolled: 1-line block ×6, first 2 shown]
	ds_write2_b32 v28, v25, v27 offset1:26
	ds_write2_b32 v28, v32, v33 offset0:52 offset1:78
	ds_write2_b32 v28, v22, v19 offset0:104 offset1:130
	ds_write_b32 v28, v23 offset:624
	s_and_saveexec_b32 s1, s0
	s_cbranch_execz .LBB0_31
; %bb.30:
	v_mov_b32_e32 v19, 0x4ec5
	v_mul_u32_u24_sdwa v19, v18, v19 dst_sel:DWORD dst_unused:UNUSED_PAD src0_sel:WORD_0 src1_sel:DWORD
	v_lshrrev_b32_e32 v26, 19, v19
	v_mul_lo_u16 v19, v26, 26
	v_sub_nc_u16 v27, v18, v19
	v_mul_u32_u24_sdwa v18, v27, v20 dst_sel:DWORD dst_unused:UNUSED_PAD src0_sel:WORD_0 src1_sel:DWORD
	v_mul_lo_u16 v20, 0xb6, v26
	v_lshlrev_b32_e32 v18, 2, v18
	v_lshlrev_b32_sdwa v20, v21, v20 dst_sel:DWORD dst_unused:UNUSED_PAD src0_sel:DWORD src1_sel:WORD_0
	v_lshlrev_b32_sdwa v21, v21, v27 dst_sel:DWORD dst_unused:UNUSED_PAD src0_sel:DWORD src1_sel:WORD_0
	s_clause 0x1
	global_load_dwordx4 v[22:25], v18, s[12:13] offset:96
	global_load_dwordx2 v[18:19], v18, s[12:13] offset:112
	v_add3_u32 v20, 0, v21, v20
	s_waitcnt vmcnt(1)
	v_mul_f16_sdwa v21, v31, v22 dst_sel:DWORD dst_unused:UNUSED_PAD src0_sel:DWORD src1_sel:WORD_1
	s_waitcnt vmcnt(0)
	v_mul_f16_sdwa v26, v17, v19 dst_sel:DWORD dst_unused:UNUSED_PAD src0_sel:DWORD src1_sel:WORD_1
	v_mul_f16_sdwa v30, v12, v23 dst_sel:DWORD dst_unused:UNUSED_PAD src0_sel:DWORD src1_sel:WORD_1
	;; [unrolled: 1-line block ×11, first 2 shown]
	v_fma_f16 v21, v29, v22, -v21
	v_fma_f16 v6, v6, v19, -v26
	;; [unrolled: 1-line block ×4, first 2 shown]
	v_fmac_f16_e32 v33, v17, v19
	v_fmac_f16_e32 v34, v31, v22
	;; [unrolled: 1-line block ×4, first 2 shown]
	v_fma_f16 v11, v11, v25, -v27
	v_fma_f16 v9, v9, v24, -v28
	v_fmac_f16_e32 v35, v15, v24
	v_fmac_f16_e32 v36, v14, v25
	v_sub_f16_e32 v12, v21, v6
	v_sub_f16_e32 v14, v16, v10
	v_add_f16_e32 v15, v34, v33
	v_add_f16_e32 v18, v38, v37
	;; [unrolled: 1-line block ×4, first 2 shown]
	v_sub_f16_e32 v13, v11, v9
	v_add_f16_e32 v17, v35, v36
	v_add_f16_e32 v9, v9, v11
	v_sub_f16_e32 v11, v34, v33
	v_sub_f16_e32 v16, v36, v35
	;; [unrolled: 1-line block ×3, first 2 shown]
	v_add_f16_e32 v25, v18, v15
	v_add_f16_e32 v28, v10, v6
	v_sub_f16_e32 v21, v12, v13
	v_sub_f16_e32 v22, v13, v14
	v_add_f16_e32 v13, v13, v14
	v_sub_f16_e32 v23, v15, v17
	v_sub_f16_e32 v24, v17, v18
	;; [unrolled: 1-line block ×6, first 2 shown]
	v_add_f16_e32 v16, v16, v19
	v_sub_f16_e32 v14, v14, v12
	v_sub_f16_e32 v6, v10, v6
	;; [unrolled: 1-line block ×3, first 2 shown]
	v_add_f16_e32 v17, v17, v25
	v_add_f16_e32 v9, v9, v28
	v_sub_f16_e32 v15, v18, v15
	v_mul_f16_e32 v18, 0xb846, v22
	v_add_f16_e32 v12, v13, v12
	v_mul_f16_e32 v13, 0x3a52, v23
	v_mul_f16_e32 v22, 0x3a52, v26
	v_mul_f16_e32 v25, 0xb846, v30
	v_add_f16_e32 v11, v16, v11
	v_mul_f16_e32 v16, 0x3b00, v14
	v_mul_f16_e32 v26, 0x3b00, v10
	v_add_f16_e32 v8, v8, v17
	v_add_f16_e32 v7, v7, v9
	v_mul_f16_e32 v19, 0x2b26, v24
	v_mul_f16_e32 v23, 0x2b26, v27
	v_fmamk_f16 v28, v21, 0x3574, v18
	v_fmamk_f16 v24, v24, 0x2b26, v13
	;; [unrolled: 1-line block ×4, first 2 shown]
	v_fma_f16 v16, v21, 0xb574, -v16
	v_fma_f16 v21, v6, 0xb9e0, -v22
	;; [unrolled: 1-line block ×4, first 2 shown]
	v_fmamk_f16 v17, v17, 0xbcab, v8
	v_fmamk_f16 v9, v9, 0xbcab, v7
	v_fma_f16 v13, v15, 0xb9e0, -v13
	v_fma_f16 v15, v15, 0x39e0, -v19
	;; [unrolled: 1-line block ×4, first 2 shown]
	v_fmac_f16_e32 v28, 0x370e, v12
	v_fmac_f16_e32 v30, 0x370e, v11
	;; [unrolled: 1-line block ×4, first 2 shown]
	v_pack_b32_f16 v7, v7, v8
	v_add_f16_e32 v8, v24, v17
	v_add_f16_e32 v11, v27, v9
	v_fmac_f16_e32 v16, 0x370e, v12
	v_fmac_f16_e32 v14, 0x370e, v12
	v_add_f16_e32 v12, v13, v17
	v_add_f16_e32 v13, v21, v9
	;; [unrolled: 1-line block ×5, first 2 shown]
	v_sub_f16_e32 v17, v11, v30
	v_sub_f16_e32 v8, v8, v28
	v_add_f16_e32 v11, v30, v11
	v_add_f16_e32 v18, v16, v12
	v_sub_f16_e32 v19, v15, v14
	v_add_f16_e32 v14, v14, v15
	v_sub_f16_e32 v12, v12, v16
	;; [unrolled: 2-line block ×4, first 2 shown]
	v_pack_b32_f16 v8, v11, v8
	v_pack_b32_f16 v11, v15, v12
	v_pack_b32_f16 v12, v16, v14
	v_pack_b32_f16 v6, v6, v19
	v_pack_b32_f16 v10, v10, v18
	v_pack_b32_f16 v9, v17, v9
	ds_write2_b32 v20, v7, v8 offset1:26
	ds_write2_b32 v20, v11, v12 offset0:52 offset1:78
	ds_write2_b32 v20, v6, v10 offset0:104 offset1:130
	ds_write_b32 v20, v9 offset:624
.LBB0_31:
	s_or_b32 exec_lo, exec_lo, s1
	v_mul_u32_u24_e32 v6, 10, v5
	s_waitcnt lgkmcnt(0)
	s_barrier
	buffer_gl0_inv
	v_add_nc_u32_e32 v8, 0x1000, v0
	v_lshlrev_b32_e32 v6, 2, v6
	v_add_nc_u32_e32 v9, 0x1600, v0
	v_add_nc_u32_e32 v10, 0x500, v0
	;; [unrolled: 1-line block ×3, first 2 shown]
	s_clause 0x2
	global_load_dwordx4 v[12:15], v6, s[12:13] offset:720
	global_load_dwordx4 v[16:19], v6, s[12:13] offset:736
	global_load_dwordx2 v[20:21], v6, s[12:13] offset:752
	ds_read2_b32 v[6:7], v0 offset1:182
	ds_read_b32 v30, v0 offset:7280
	ds_read2_b32 v[22:23], v8 offset0:68 offset1:250
	ds_read2_b32 v[24:25], v9 offset0:48 offset1:230
	;; [unrolled: 1-line block ×4, first 2 shown]
	s_waitcnt vmcnt(0) lgkmcnt(0)
	s_barrier
	buffer_gl0_inv
	v_lshrrev_b32_e32 v32, 16, v7
	v_lshrrev_b32_e32 v31, 16, v30
	;; [unrolled: 1-line block ×10, first 2 shown]
	v_mul_f16_sdwa v41, v12, v32 dst_sel:DWORD dst_unused:UNUSED_PAD src0_sel:WORD_1 src1_sel:DWORD
	v_mul_f16_sdwa v42, v12, v7 dst_sel:DWORD dst_unused:UNUSED_PAD src0_sel:WORD_1 src1_sel:DWORD
	;; [unrolled: 1-line block ×10, first 2 shown]
	v_mul_f16_sdwa v51, v33, v17 dst_sel:DWORD dst_unused:UNUSED_PAD src0_sel:DWORD src1_sel:WORD_1
	v_mul_f16_sdwa v52, v22, v17 dst_sel:DWORD dst_unused:UNUSED_PAD src0_sel:DWORD src1_sel:WORD_1
	;; [unrolled: 1-line block ×10, first 2 shown]
	v_fma_f16 v7, v12, v7, -v41
	v_fmac_f16_e32 v42, v12, v32
	v_fma_f16 v12, v13, v26, -v43
	v_fmac_f16_e32 v44, v13, v37
	;; [unrolled: 2-line block ×8, first 2 shown]
	v_fma_f16 v19, v25, v20, -v57
	v_fma_f16 v22, v30, v21, -v59
	v_fmac_f16_e32 v60, v31, v21
	v_fmac_f16_e32 v58, v36, v20
	v_add_f16_e32 v20, v7, v6
	v_add_f16_sdwa v21, v42, v6 dst_sel:DWORD dst_unused:UNUSED_PAD src0_sel:DWORD src1_sel:WORD_1
	v_add_f16_e32 v23, v7, v22
	v_sub_f16_e32 v7, v7, v22
	v_sub_f16_e32 v25, v42, v60
	v_add_f16_e32 v26, v12, v19
	v_sub_f16_e32 v28, v12, v19
	v_add_f16_e32 v12, v20, v12
	v_add_f16_e32 v20, v21, v44
	;; [unrolled: 1-line block ×4, first 2 shown]
	v_sub_f16_e32 v29, v44, v58
	v_add_f16_e32 v30, v13, v18
	v_sub_f16_e32 v32, v13, v18
	v_sub_f16_e32 v33, v46, v56
	;; [unrolled: 1-line block ×6, first 2 shown]
	v_mul_f16_e32 v21, 0xb853, v25
	v_mul_f16_e32 v42, 0xb853, v7
	;; [unrolled: 1-line block ×10, first 2 shown]
	v_add_f16_e32 v12, v12, v13
	v_add_f16_e32 v13, v20, v46
	;; [unrolled: 1-line block ×7, first 2 shown]
	v_mul_f16_e32 v53, 0xbb47, v29
	v_mul_f16_e32 v55, 0xbb47, v28
	;; [unrolled: 1-line block ×40, first 2 shown]
	v_fma_f16 v20, v23, 0x3abb, -v21
	v_fmamk_f16 v46, v24, 0x3abb, v42
	v_fmac_f16_e32 v21, 0x3abb, v23
	v_fma_f16 v42, v24, 0x3abb, -v42
	v_fma_f16 v89, v23, 0x36a6, -v43
	v_fmamk_f16 v90, v24, 0x36a6, v44
	v_fmac_f16_e32 v43, 0x36a6, v23
	v_fma_f16 v44, v24, 0x36a6, -v44
	;; [unrolled: 4-line block ×5, first 2 shown]
	v_add_f16_e32 v12, v12, v14
	v_add_f16_e32 v13, v13, v48
	v_fma_f16 v23, v26, 0x36a6, -v53
	v_fmamk_f16 v24, v27, 0x36a6, v55
	v_fmac_f16_e32 v53, 0x36a6, v26
	v_fma_f16 v55, v27, 0x36a6, -v55
	v_fma_f16 v97, v26, 0xb93d, -v57
	v_fmamk_f16 v98, v27, 0xb93d, v59
	v_fmac_f16_e32 v57, 0xb93d, v26
	v_fma_f16 v59, v27, 0xb93d, -v59
	;; [unrolled: 4-line block ×20, first 2 shown]
	v_add_f16_e32 v14, v20, v6
	v_add_f16_sdwa v20, v46, v6 dst_sel:DWORD dst_unused:UNUSED_PAD src0_sel:DWORD src1_sel:WORD_1
	v_add_f16_e32 v21, v21, v6
	v_add_f16_sdwa v39, v42, v6 dst_sel:DWORD dst_unused:UNUSED_PAD src0_sel:DWORD src1_sel:WORD_1
	;; [unrolled: 2-line block ×10, first 2 shown]
	v_add_f16_e32 v7, v12, v15
	v_add_f16_e32 v12, v13, v50
	;; [unrolled: 1-line block ×91, first 2 shown]
	v_add_f16_sdwa v12, v12, v60 dst_sel:WORD_1 dst_unused:UNUSED_PAD src0_sel:DWORD src1_sel:DWORD
	v_pack_b32_f16 v13, v13, v14
	v_pack_b32_f16 v14, v17, v18
	;; [unrolled: 1-line block ×10, first 2 shown]
	v_or_b32_sdwa v7, v12, v7 dst_sel:DWORD dst_unused:UNUSED_PAD src0_sel:DWORD src1_sel:WORD_0
	ds_write2_b32 v10, v14, v17 offset0:44 offset1:226
	ds_write2_b32 v11, v18, v19 offset0:24 offset1:206
	;; [unrolled: 1-line block ×4, first 2 shown]
	ds_write_b32 v0, v15 offset:7280
	ds_write2_b32 v0, v7, v13 offset1:182
	s_waitcnt lgkmcnt(0)
	s_barrier
	buffer_gl0_inv
	s_and_saveexec_b32 s0, vcc_lo
	s_cbranch_execz .LBB0_33
; %bb.32:
	v_mul_lo_u32 v0, s3, v3
	v_mul_lo_u32 v7, s2, v4
	v_mad_u64_u32 v[3:4], null, s2, v3, 0
	v_lshl_add_u32 v15, v5, 2, 0
	v_mov_b32_e32 v6, 0
	ds_read2_b32 v[11:12], v15 offset1:182
	v_add3_u32 v4, v4, v7, v0
	v_lshlrev_b64 v[0:1], 2, v[1:2]
	v_add_nc_u32_e32 v2, 0xb6, v5
	v_lshlrev_b64 v[13:14], 2, v[5:6]
	v_add_nc_u32_e32 v7, 0x16c, v5
	v_lshlrev_b64 v[9:10], 2, v[3:4]
	v_mov_b32_e32 v3, v6
	v_mov_b32_e32 v8, v6
	v_lshlrev_b64 v[2:3], 2, v[2:3]
	v_add_co_u32 v4, vcc_lo, s10, v9
	v_add_co_ci_u32_e32 v9, vcc_lo, s11, v10, vcc_lo
	v_add_nc_u32_e32 v10, 0x500, v15
	v_add_co_u32 v16, vcc_lo, v4, v0
	v_add_co_ci_u32_e32 v17, vcc_lo, v9, v1, vcc_lo
	ds_read2_b32 v[0:1], v10 offset0:44 offset1:226
	v_add_co_u32 v9, vcc_lo, v16, v13
	v_lshlrev_b64 v[7:8], 2, v[7:8]
	v_add_co_ci_u32_e32 v10, vcc_lo, v17, v14, vcc_lo
	v_add_co_u32 v2, vcc_lo, v16, v2
	v_add_co_ci_u32_e32 v3, vcc_lo, v17, v3, vcc_lo
	v_add_co_u32 v7, vcc_lo, v16, v7
	v_add_co_ci_u32_e32 v8, vcc_lo, v17, v8, vcc_lo
	v_add_nc_u32_e32 v4, 0xb00, v15
	s_waitcnt lgkmcnt(1)
	global_store_dword v[9:10], v11, off
	v_add_nc_u32_e32 v9, 0x222, v5
	v_mov_b32_e32 v10, v6
	global_store_dword v[2:3], v12, off
	s_waitcnt lgkmcnt(0)
	global_store_dword v[7:8], v0, off
	v_add_nc_u32_e32 v13, 0x2d8, v5
	v_mov_b32_e32 v14, v6
	ds_read2_b32 v[7:8], v4 offset0:24 offset1:206
	v_lshlrev_b64 v[2:3], 2, v[9:10]
	v_add_nc_u32_e32 v11, 0x38e, v5
	v_mov_b32_e32 v12, v6
	v_lshlrev_b64 v[9:10], 2, v[13:14]
	v_add_nc_u32_e32 v13, 0x444, v5
	v_add_nc_u32_e32 v0, 0x1000, v15
	v_add_co_u32 v2, vcc_lo, v16, v2
	v_lshlrev_b64 v[11:12], 2, v[11:12]
	v_add_co_ci_u32_e32 v3, vcc_lo, v17, v3, vcc_lo
	v_add_co_u32 v9, vcc_lo, v16, v9
	v_add_co_ci_u32_e32 v10, vcc_lo, v17, v10, vcc_lo
	v_add_co_u32 v11, vcc_lo, v16, v11
	v_add_co_ci_u32_e32 v12, vcc_lo, v17, v12, vcc_lo
	global_store_dword v[2:3], v1, off
	s_waitcnt lgkmcnt(0)
	global_store_dword v[9:10], v7, off
	global_store_dword v[11:12], v8, off
	v_add_nc_u32_e32 v7, 0x4fa, v5
	v_mov_b32_e32 v8, v6
	v_add_nc_u32_e32 v4, 0x1600, v15
	v_lshlrev_b64 v[2:3], 2, v[13:14]
	ds_read2_b32 v[0:1], v0 offset0:68 offset1:250
	v_add_nc_u32_e32 v9, 0x5b0, v5
	v_mov_b32_e32 v10, v6
	v_lshlrev_b64 v[7:8], 2, v[7:8]
	ds_read2_b32 v[11:12], v4 offset0:48 offset1:230
	v_add_nc_u32_e32 v13, 0x666, v5
	ds_read_b32 v15, v15 offset:7280
	v_add_co_u32 v2, vcc_lo, v16, v2
	v_lshlrev_b64 v[9:10], 2, v[9:10]
	v_add_nc_u32_e32 v5, 0x71c, v5
	v_add_co_ci_u32_e32 v3, vcc_lo, v17, v3, vcc_lo
	v_add_co_u32 v7, vcc_lo, v16, v7
	v_lshlrev_b64 v[13:14], 2, v[13:14]
	v_add_co_ci_u32_e32 v8, vcc_lo, v17, v8, vcc_lo
	v_add_co_u32 v9, vcc_lo, v16, v9
	v_lshlrev_b64 v[4:5], 2, v[5:6]
	v_add_co_ci_u32_e32 v10, vcc_lo, v17, v10, vcc_lo
	v_add_co_u32 v13, vcc_lo, v16, v13
	v_add_co_ci_u32_e32 v14, vcc_lo, v17, v14, vcc_lo
	v_add_co_u32 v4, vcc_lo, v16, v4
	v_add_co_ci_u32_e32 v5, vcc_lo, v17, v5, vcc_lo
	s_waitcnt lgkmcnt(2)
	global_store_dword v[2:3], v0, off
	global_store_dword v[7:8], v1, off
	s_waitcnt lgkmcnt(1)
	global_store_dword v[9:10], v11, off
	global_store_dword v[13:14], v12, off
	s_waitcnt lgkmcnt(0)
	global_store_dword v[4:5], v15, off
.LBB0_33:
	s_endpgm
	.section	.rodata,"a",@progbits
	.p2align	6, 0x0
	.amdhsa_kernel fft_rtc_fwd_len2002_factors_2_13_7_11_wgs_182_tpt_182_halfLds_half_op_CI_CI_unitstride_sbrr_C2R_dirReg
		.amdhsa_group_segment_fixed_size 0
		.amdhsa_private_segment_fixed_size 0
		.amdhsa_kernarg_size 104
		.amdhsa_user_sgpr_count 6
		.amdhsa_user_sgpr_private_segment_buffer 1
		.amdhsa_user_sgpr_dispatch_ptr 0
		.amdhsa_user_sgpr_queue_ptr 0
		.amdhsa_user_sgpr_kernarg_segment_ptr 1
		.amdhsa_user_sgpr_dispatch_id 0
		.amdhsa_user_sgpr_flat_scratch_init 0
		.amdhsa_user_sgpr_private_segment_size 0
		.amdhsa_wavefront_size32 1
		.amdhsa_uses_dynamic_stack 0
		.amdhsa_system_sgpr_private_segment_wavefront_offset 0
		.amdhsa_system_sgpr_workgroup_id_x 1
		.amdhsa_system_sgpr_workgroup_id_y 0
		.amdhsa_system_sgpr_workgroup_id_z 0
		.amdhsa_system_sgpr_workgroup_info 0
		.amdhsa_system_vgpr_workitem_id 0
		.amdhsa_next_free_vgpr 150
		.amdhsa_next_free_sgpr 27
		.amdhsa_reserve_vcc 1
		.amdhsa_reserve_flat_scratch 0
		.amdhsa_float_round_mode_32 0
		.amdhsa_float_round_mode_16_64 0
		.amdhsa_float_denorm_mode_32 3
		.amdhsa_float_denorm_mode_16_64 3
		.amdhsa_dx10_clamp 1
		.amdhsa_ieee_mode 1
		.amdhsa_fp16_overflow 0
		.amdhsa_workgroup_processor_mode 1
		.amdhsa_memory_ordered 1
		.amdhsa_forward_progress 0
		.amdhsa_shared_vgpr_count 0
		.amdhsa_exception_fp_ieee_invalid_op 0
		.amdhsa_exception_fp_denorm_src 0
		.amdhsa_exception_fp_ieee_div_zero 0
		.amdhsa_exception_fp_ieee_overflow 0
		.amdhsa_exception_fp_ieee_underflow 0
		.amdhsa_exception_fp_ieee_inexact 0
		.amdhsa_exception_int_div_zero 0
	.end_amdhsa_kernel
	.text
.Lfunc_end0:
	.size	fft_rtc_fwd_len2002_factors_2_13_7_11_wgs_182_tpt_182_halfLds_half_op_CI_CI_unitstride_sbrr_C2R_dirReg, .Lfunc_end0-fft_rtc_fwd_len2002_factors_2_13_7_11_wgs_182_tpt_182_halfLds_half_op_CI_CI_unitstride_sbrr_C2R_dirReg
                                        ; -- End function
	.section	.AMDGPU.csdata,"",@progbits
; Kernel info:
; codeLenInByte = 12188
; NumSgprs: 29
; NumVgprs: 150
; ScratchSize: 0
; MemoryBound: 0
; FloatMode: 240
; IeeeMode: 1
; LDSByteSize: 0 bytes/workgroup (compile time only)
; SGPRBlocks: 3
; VGPRBlocks: 18
; NumSGPRsForWavesPerEU: 29
; NumVGPRsForWavesPerEU: 150
; Occupancy: 6
; WaveLimiterHint : 1
; COMPUTE_PGM_RSRC2:SCRATCH_EN: 0
; COMPUTE_PGM_RSRC2:USER_SGPR: 6
; COMPUTE_PGM_RSRC2:TRAP_HANDLER: 0
; COMPUTE_PGM_RSRC2:TGID_X_EN: 1
; COMPUTE_PGM_RSRC2:TGID_Y_EN: 0
; COMPUTE_PGM_RSRC2:TGID_Z_EN: 0
; COMPUTE_PGM_RSRC2:TIDIG_COMP_CNT: 0
	.text
	.p2alignl 6, 3214868480
	.fill 48, 4, 3214868480
	.type	__hip_cuid_445105a6ec8ddfd8,@object ; @__hip_cuid_445105a6ec8ddfd8
	.section	.bss,"aw",@nobits
	.globl	__hip_cuid_445105a6ec8ddfd8
__hip_cuid_445105a6ec8ddfd8:
	.byte	0                               ; 0x0
	.size	__hip_cuid_445105a6ec8ddfd8, 1

	.ident	"AMD clang version 19.0.0git (https://github.com/RadeonOpenCompute/llvm-project roc-6.4.0 25133 c7fe45cf4b819c5991fe208aaa96edf142730f1d)"
	.section	".note.GNU-stack","",@progbits
	.addrsig
	.addrsig_sym __hip_cuid_445105a6ec8ddfd8
	.amdgpu_metadata
---
amdhsa.kernels:
  - .args:
      - .actual_access:  read_only
        .address_space:  global
        .offset:         0
        .size:           8
        .value_kind:     global_buffer
      - .offset:         8
        .size:           8
        .value_kind:     by_value
      - .actual_access:  read_only
        .address_space:  global
        .offset:         16
        .size:           8
        .value_kind:     global_buffer
      - .actual_access:  read_only
        .address_space:  global
        .offset:         24
        .size:           8
        .value_kind:     global_buffer
      - .actual_access:  read_only
        .address_space:  global
        .offset:         32
        .size:           8
        .value_kind:     global_buffer
      - .offset:         40
        .size:           8
        .value_kind:     by_value
      - .actual_access:  read_only
        .address_space:  global
        .offset:         48
        .size:           8
        .value_kind:     global_buffer
      - .actual_access:  read_only
        .address_space:  global
        .offset:         56
        .size:           8
        .value_kind:     global_buffer
      - .offset:         64
        .size:           4
        .value_kind:     by_value
      - .actual_access:  read_only
        .address_space:  global
        .offset:         72
        .size:           8
        .value_kind:     global_buffer
      - .actual_access:  read_only
        .address_space:  global
        .offset:         80
        .size:           8
        .value_kind:     global_buffer
      - .actual_access:  read_only
        .address_space:  global
        .offset:         88
        .size:           8
        .value_kind:     global_buffer
      - .actual_access:  write_only
        .address_space:  global
        .offset:         96
        .size:           8
        .value_kind:     global_buffer
    .group_segment_fixed_size: 0
    .kernarg_segment_align: 8
    .kernarg_segment_size: 104
    .language:       OpenCL C
    .language_version:
      - 2
      - 0
    .max_flat_workgroup_size: 182
    .name:           fft_rtc_fwd_len2002_factors_2_13_7_11_wgs_182_tpt_182_halfLds_half_op_CI_CI_unitstride_sbrr_C2R_dirReg
    .private_segment_fixed_size: 0
    .sgpr_count:     29
    .sgpr_spill_count: 0
    .symbol:         fft_rtc_fwd_len2002_factors_2_13_7_11_wgs_182_tpt_182_halfLds_half_op_CI_CI_unitstride_sbrr_C2R_dirReg.kd
    .uniform_work_group_size: 1
    .uses_dynamic_stack: false
    .vgpr_count:     150
    .vgpr_spill_count: 0
    .wavefront_size: 32
    .workgroup_processor_mode: 1
amdhsa.target:   amdgcn-amd-amdhsa--gfx1030
amdhsa.version:
  - 1
  - 2
...

	.end_amdgpu_metadata
